;; amdgpu-corpus repo=ROCm/rocFFT kind=compiled arch=gfx1030 opt=O3
	.text
	.amdgcn_target "amdgcn-amd-amdhsa--gfx1030"
	.amdhsa_code_object_version 6
	.protected	fft_rtc_back_len84_factors_7_2_6_wgs_336_tpt_14_half_ip_CI_sbcc_twdbase5_3step_dirReg_intrinsicReadWrite ; -- Begin function fft_rtc_back_len84_factors_7_2_6_wgs_336_tpt_14_half_ip_CI_sbcc_twdbase5_3step_dirReg_intrinsicReadWrite
	.globl	fft_rtc_back_len84_factors_7_2_6_wgs_336_tpt_14_half_ip_CI_sbcc_twdbase5_3step_dirReg_intrinsicReadWrite
	.p2align	8
	.type	fft_rtc_back_len84_factors_7_2_6_wgs_336_tpt_14_half_ip_CI_sbcc_twdbase5_3step_dirReg_intrinsicReadWrite,@function
fft_rtc_back_len84_factors_7_2_6_wgs_336_tpt_14_half_ip_CI_sbcc_twdbase5_3step_dirReg_intrinsicReadWrite: ; @fft_rtc_back_len84_factors_7_2_6_wgs_336_tpt_14_half_ip_CI_sbcc_twdbase5_3step_dirReg_intrinsicReadWrite
; %bb.0:
	s_load_dwordx8 s[8:15], s[4:5], 0x8
	s_mov_b32 s0, exec_lo
	v_cmpx_gt_u32_e32 0x60, v0
	s_cbranch_execz .LBB0_2
; %bb.1:
	v_lshlrev_b32_e32 v1, 2, v0
	s_waitcnt lgkmcnt(0)
	global_load_dword v2, v1, s[8:9]
	v_add_nc_u32_e32 v1, 0, v1
	s_waitcnt vmcnt(0)
	ds_write_b32 v1, v2 offset:8064
.LBB0_2:
	s_or_b32 exec_lo, exec_lo, s0
	s_waitcnt lgkmcnt(0)
	s_load_dwordx2 s[20:21], s[12:13], 0x8
	s_mov_b64 s[22:23], 0
	s_waitcnt lgkmcnt(0)
	s_add_u32 s0, s20, -1
	s_addc_u32 s1, s21, -1
	s_add_u32 s2, 0, 0xaaaa0000
	s_addc_u32 s3, 0, 42
	s_mul_hi_u32 s8, s2, 0xffffffe8
	s_add_i32 s3, s3, 0xaaaaa80
	s_sub_i32 s8, s8, s2
	s_mul_i32 s16, s3, 0xffffffe8
	s_mul_i32 s7, s2, 0xffffffe8
	s_add_i32 s8, s8, s16
	s_mul_hi_u32 s9, s2, s7
	s_mul_i32 s18, s2, s8
	s_mul_hi_u32 s16, s2, s8
	s_mul_hi_u32 s17, s3, s7
	s_mul_i32 s7, s3, s7
	s_add_u32 s9, s9, s18
	s_addc_u32 s16, 0, s16
	s_mul_hi_u32 s19, s3, s8
	s_add_u32 s7, s9, s7
	s_mul_i32 s8, s3, s8
	s_addc_u32 s7, s16, s17
	s_addc_u32 s9, s19, 0
	s_add_u32 s7, s7, s8
	v_add_co_u32 v1, s2, s2, s7
	s_addc_u32 s7, 0, s9
	s_cmp_lg_u32 s2, 0
	s_addc_u32 s2, s3, s7
	v_readfirstlane_b32 s3, v1
	s_mul_i32 s8, s0, s2
	s_mul_hi_u32 s7, s0, s2
	s_mul_hi_u32 s9, s1, s2
	s_mul_i32 s2, s1, s2
	s_mul_hi_u32 s16, s0, s3
	s_mul_hi_u32 s17, s1, s3
	s_mul_i32 s3, s1, s3
	s_add_u32 s8, s16, s8
	s_addc_u32 s7, 0, s7
	s_add_u32 s3, s8, s3
	s_addc_u32 s3, s7, s17
	s_addc_u32 s7, s9, 0
	s_add_u32 s2, s3, s2
	s_addc_u32 s3, 0, s7
	s_mul_i32 s8, s2, 24
	s_add_u32 s7, s2, 1
	v_sub_co_u32 v1, s0, s0, s8
	s_mul_hi_u32 s8, s2, 24
	s_addc_u32 s9, s3, 0
	s_mul_i32 s16, s3, 24
	v_sub_co_u32 v2, s17, v1, 24
	s_add_u32 s18, s2, 2
	s_addc_u32 s19, s3, 0
	s_add_i32 s8, s8, s16
	s_cmp_lg_u32 s0, 0
	v_readfirstlane_b32 s0, v2
	s_subb_u32 s1, s1, s8
	s_cmp_lg_u32 s17, 0
	s_subb_u32 s8, s1, 0
	s_cmp_gt_u32 s0, 23
	s_cselect_b32 s0, -1, 0
	s_cmp_eq_u32 s8, 0
	v_readfirstlane_b32 s8, v1
	s_cselect_b32 s0, s0, -1
	s_cmp_lg_u32 s0, 0
	s_cselect_b32 s0, s18, s7
	s_cselect_b32 s9, s19, s9
	s_cmp_gt_u32 s8, 23
	s_cselect_b32 s7, -1, 0
	s_cmp_eq_u32 s1, 0
	s_cselect_b32 s1, s7, -1
	s_mov_b32 s7, 0
	s_cmp_lg_u32 s1, 0
	s_cselect_b32 s0, s0, s2
	s_cselect_b32 s1, s9, s3
	s_add_u32 s0, s0, 1
	s_addc_u32 s1, s1, 0
	v_cmp_lt_u64_e64 s2, s[6:7], s[0:1]
	s_and_b32 vcc_lo, exec_lo, s2
	s_cbranch_vccnz .LBB0_4
; %bb.3:
	v_cvt_f32_u32_e32 v1, s0
	s_sub_i32 s3, 0, s0
	s_mov_b32 s23, s7
	v_rcp_iflag_f32_e32 v1, v1
	v_mul_f32_e32 v1, 0x4f7ffffe, v1
	v_cvt_u32_f32_e32 v1, v1
	v_readfirstlane_b32 s2, v1
	s_mul_i32 s3, s3, s2
	s_mul_hi_u32 s3, s2, s3
	s_add_i32 s2, s2, s3
	s_mul_hi_u32 s2, s6, s2
	s_mul_i32 s3, s2, s0
	s_add_i32 s8, s2, 1
	s_sub_i32 s3, s6, s3
	s_sub_i32 s9, s3, s0
	s_cmp_ge_u32 s3, s0
	s_cselect_b32 s2, s8, s2
	s_cselect_b32 s3, s9, s3
	s_add_i32 s8, s2, 1
	s_cmp_ge_u32 s3, s0
	s_cselect_b32 s22, s8, s2
.LBB0_4:
	s_load_dwordx4 s[16:19], s[14:15], 0x0
	s_clause 0x1
	s_load_dwordx2 s[8:9], s[4:5], 0x58
	s_load_dwordx2 s[2:3], s[4:5], 0x0
	s_mul_i32 s4, s22, s1
	s_mul_hi_u32 s5, s22, s0
	s_waitcnt lgkmcnt(0)
	s_mul_i32 s17, s22, s0
	s_add_i32 s5, s5, s4
	s_sub_u32 s34, s6, s17
	s_subb_u32 s4, 0, s5
	v_cmp_lt_u64_e64 s24, s[10:11], 3
	s_mul_hi_u32 s33, s34, 24
	s_mul_i32 s4, s4, 24
	s_mul_i32 s34, s34, 24
	s_add_i32 s33, s33, s4
	s_and_b32 vcc_lo, exec_lo, s24
	s_mul_i32 s4, s18, s33
	s_mul_hi_u32 s5, s18, s34
	s_mul_i32 s24, s19, s34
	s_add_i32 s4, s5, s4
	s_mul_i32 s17, s18, s34
	s_add_i32 s35, s4, s24
	s_cbranch_vccnz .LBB0_12
; %bb.5:
	s_add_u32 s4, s14, 16
	s_addc_u32 s5, s15, 0
	s_add_u32 s12, s12, 16
	s_addc_u32 s13, s13, 0
	s_mov_b64 s[24:25], 2
	s_mov_b32 s26, 0
.LBB0_6:                                ; =>This Inner Loop Header: Depth=1
	s_load_dwordx2 s[28:29], s[12:13], 0x0
	s_waitcnt lgkmcnt(0)
	s_or_b64 s[30:31], s[22:23], s[28:29]
	s_mov_b32 s27, s31
                                        ; implicit-def: $sgpr30_sgpr31
	s_cmp_lg_u64 s[26:27], 0
	s_mov_b32 s27, -1
	s_cbranch_scc0 .LBB0_8
; %bb.7:                                ;   in Loop: Header=BB0_6 Depth=1
	v_cvt_f32_u32_e32 v1, s28
	v_cvt_f32_u32_e32 v2, s29
	s_sub_u32 s31, 0, s28
	s_subb_u32 s36, 0, s29
	v_fmac_f32_e32 v1, 0x4f800000, v2
	v_rcp_f32_e32 v1, v1
	v_mul_f32_e32 v1, 0x5f7ffffc, v1
	v_mul_f32_e32 v2, 0x2f800000, v1
	v_trunc_f32_e32 v2, v2
	v_fmac_f32_e32 v1, 0xcf800000, v2
	v_cvt_u32_f32_e32 v2, v2
	v_cvt_u32_f32_e32 v1, v1
	v_readfirstlane_b32 s27, v2
	v_readfirstlane_b32 s30, v1
	s_mul_i32 s37, s31, s27
	s_mul_hi_u32 s39, s31, s30
	s_mul_i32 s38, s36, s30
	s_add_i32 s37, s39, s37
	s_mul_i32 s40, s31, s30
	s_add_i32 s37, s37, s38
	s_mul_hi_u32 s39, s30, s40
	s_mul_hi_u32 s41, s27, s40
	s_mul_i32 s38, s27, s40
	s_mul_hi_u32 s40, s30, s37
	s_mul_i32 s30, s30, s37
	s_mul_hi_u32 s42, s27, s37
	s_add_u32 s30, s39, s30
	s_addc_u32 s39, 0, s40
	s_add_u32 s30, s30, s38
	s_mul_i32 s37, s27, s37
	s_addc_u32 s30, s39, s41
	s_addc_u32 s38, s42, 0
	s_add_u32 s30, s30, s37
	s_addc_u32 s37, 0, s38
	v_add_co_u32 v1, s30, v1, s30
	s_cmp_lg_u32 s30, 0
	s_addc_u32 s27, s27, s37
	v_readfirstlane_b32 s30, v1
	s_mul_i32 s37, s31, s27
	s_mul_hi_u32 s38, s31, s30
	s_mul_i32 s36, s36, s30
	s_add_i32 s37, s38, s37
	s_mul_i32 s31, s31, s30
	s_add_i32 s37, s37, s36
	s_mul_hi_u32 s38, s27, s31
	s_mul_i32 s39, s27, s31
	s_mul_hi_u32 s31, s30, s31
	s_mul_hi_u32 s40, s30, s37
	s_mul_i32 s30, s30, s37
	s_mul_hi_u32 s36, s27, s37
	s_add_u32 s30, s31, s30
	s_addc_u32 s31, 0, s40
	s_add_u32 s30, s30, s39
	s_mul_i32 s37, s27, s37
	s_addc_u32 s30, s31, s38
	s_addc_u32 s31, s36, 0
	s_add_u32 s30, s30, s37
	s_addc_u32 s31, 0, s31
	v_add_co_u32 v1, s30, v1, s30
	s_cmp_lg_u32 s30, 0
	s_addc_u32 s27, s27, s31
	v_readfirstlane_b32 s30, v1
	s_mul_i32 s36, s22, s27
	s_mul_hi_u32 s31, s22, s27
	s_mul_hi_u32 s37, s23, s27
	s_mul_i32 s27, s23, s27
	s_mul_hi_u32 s38, s22, s30
	s_mul_hi_u32 s39, s23, s30
	s_mul_i32 s30, s23, s30
	s_add_u32 s36, s38, s36
	s_addc_u32 s31, 0, s31
	s_add_u32 s30, s36, s30
	s_addc_u32 s30, s31, s39
	s_addc_u32 s31, s37, 0
	s_add_u32 s30, s30, s27
	s_addc_u32 s31, 0, s31
	s_mul_hi_u32 s27, s28, s30
	s_mul_i32 s37, s28, s31
	s_mul_i32 s38, s28, s30
	s_add_i32 s27, s27, s37
	v_sub_co_u32 v1, s37, s22, s38
	s_mul_i32 s36, s29, s30
	s_add_i32 s27, s27, s36
	v_sub_co_u32 v2, s38, v1, s28
	s_sub_i32 s36, s23, s27
	s_cmp_lg_u32 s37, 0
	s_subb_u32 s36, s36, s29
	s_cmp_lg_u32 s38, 0
	v_readfirstlane_b32 s38, v2
	s_subb_u32 s36, s36, 0
	s_cmp_ge_u32 s36, s29
	s_cselect_b32 s39, -1, 0
	s_cmp_ge_u32 s38, s28
	s_cselect_b32 s38, -1, 0
	s_cmp_eq_u32 s36, s29
	s_cselect_b32 s36, s38, s39
	s_add_u32 s38, s30, 1
	s_addc_u32 s39, s31, 0
	s_add_u32 s40, s30, 2
	s_addc_u32 s41, s31, 0
	s_cmp_lg_u32 s36, 0
	s_cselect_b32 s36, s40, s38
	s_cselect_b32 s38, s41, s39
	s_cmp_lg_u32 s37, 0
	v_readfirstlane_b32 s37, v1
	s_subb_u32 s27, s23, s27
	s_cmp_ge_u32 s27, s29
	s_cselect_b32 s39, -1, 0
	s_cmp_ge_u32 s37, s28
	s_cselect_b32 s37, -1, 0
	s_cmp_eq_u32 s27, s29
	s_cselect_b32 s27, s37, s39
	s_cmp_lg_u32 s27, 0
	s_mov_b32 s27, 0
	s_cselect_b32 s31, s38, s31
	s_cselect_b32 s30, s36, s30
.LBB0_8:                                ;   in Loop: Header=BB0_6 Depth=1
	s_andn2_b32 vcc_lo, exec_lo, s27
	s_cbranch_vccnz .LBB0_10
; %bb.9:                                ;   in Loop: Header=BB0_6 Depth=1
	v_cvt_f32_u32_e32 v1, s28
	s_sub_i32 s30, 0, s28
	v_rcp_iflag_f32_e32 v1, v1
	v_mul_f32_e32 v1, 0x4f7ffffe, v1
	v_cvt_u32_f32_e32 v1, v1
	v_readfirstlane_b32 s27, v1
	s_mul_i32 s30, s30, s27
	s_mul_hi_u32 s30, s27, s30
	s_add_i32 s27, s27, s30
	s_mul_hi_u32 s27, s22, s27
	s_mul_i32 s30, s27, s28
	s_add_i32 s31, s27, 1
	s_sub_i32 s30, s22, s30
	s_sub_i32 s36, s30, s28
	s_cmp_ge_u32 s30, s28
	s_cselect_b32 s27, s31, s27
	s_cselect_b32 s30, s36, s30
	s_add_i32 s31, s27, 1
	s_cmp_ge_u32 s30, s28
	s_cselect_b32 s30, s31, s27
	s_mov_b32 s31, s26
.LBB0_10:                               ;   in Loop: Header=BB0_6 Depth=1
	s_load_dwordx2 s[36:37], s[4:5], 0x0
	s_mul_i32 s1, s28, s1
	s_mul_hi_u32 s27, s28, s0
	s_mul_i32 s38, s29, s0
	s_mul_i32 s29, s30, s29
	s_mul_hi_u32 s39, s30, s28
	s_mul_i32 s40, s31, s28
	s_add_i32 s1, s27, s1
	s_add_i32 s27, s39, s29
	s_mul_i32 s41, s30, s28
	s_add_i32 s1, s1, s38
	s_add_i32 s27, s27, s40
	s_sub_u32 s22, s22, s41
	s_subb_u32 s23, s23, s27
	s_mul_i32 s0, s28, s0
	s_waitcnt lgkmcnt(0)
	s_mul_i32 s23, s36, s23
	s_mul_hi_u32 s27, s36, s22
	s_add_i32 s23, s27, s23
	s_mul_i32 s27, s37, s22
	s_mul_i32 s22, s36, s22
	s_add_i32 s23, s23, s27
	s_add_u32 s17, s22, s17
	s_addc_u32 s35, s23, s35
	s_add_u32 s24, s24, 1
	s_addc_u32 s25, s25, 0
	s_add_u32 s4, s4, 8
	v_cmp_ge_u64_e64 s22, s[24:25], s[10:11]
	s_addc_u32 s5, s5, 0
	s_add_u32 s12, s12, 8
	s_addc_u32 s13, s13, 0
	s_and_b32 vcc_lo, exec_lo, s22
	s_cbranch_vccnz .LBB0_13
; %bb.11:                               ;   in Loop: Header=BB0_6 Depth=1
	s_mov_b64 s[22:23], s[30:31]
	s_branch .LBB0_6
.LBB0_12:
	v_mov_b32_e32 v1, s22
	v_mov_b32_e32 v2, s23
	s_branch .LBB0_15
.LBB0_13:
	v_cmp_lt_u64_e64 s1, s[6:7], s[0:1]
	v_mov_b32_e32 v1, 0
	v_mov_b32_e32 v2, 0
	s_and_b32 vcc_lo, exec_lo, s1
	s_cbranch_vccnz .LBB0_15
; %bb.14:
	v_cvt_f32_u32_e32 v1, s0
	s_sub_i32 s1, 0, s0
	v_rcp_iflag_f32_e32 v1, v1
	v_mul_f32_e32 v1, 0x4f7ffffe, v1
	v_cvt_u32_f32_e32 v1, v1
	v_mul_lo_u32 v2, s1, v1
	v_mul_hi_u32 v2, v1, v2
	v_add_nc_u32_e32 v1, v1, v2
	v_mul_hi_u32 v1, s6, v1
	v_mul_lo_u32 v2, v1, s0
	v_add_nc_u32_e32 v3, 1, v1
	v_sub_nc_u32_e32 v2, s6, v2
	v_subrev_nc_u32_e32 v4, s0, v2
	v_cmp_le_u32_e32 vcc_lo, s0, v2
	v_cndmask_b32_e32 v2, v2, v4, vcc_lo
	v_cndmask_b32_e32 v1, v1, v3, vcc_lo
	v_cmp_le_u32_e32 vcc_lo, s0, v2
	v_add_nc_u32_e32 v3, 1, v1
	v_cndmask_b32_e32 v1, v1, v3, vcc_lo
.LBB0_15:
	v_mul_hi_u32 v5, 0xaaaaaab, v0
	s_lshl_b64 s[0:1], s[10:11], 3
	s_mov_b32 s11, 0x31014000
	s_add_u32 s0, s14, s0
	s_addc_u32 s1, s15, s1
	s_add_u32 s4, s34, 24
	s_load_dword s6, s[0:1], 0x0
	v_cmp_gt_u32_e64 s1, 0x120, v0
	v_mul_u32_u24_e32 v2, 24, v5
	s_addc_u32 s5, s33, 0
	v_cmp_lt_u32_e64 s0, 0x11f, v0
	v_cmp_le_u64_e64 s4, s[4:5], s[20:21]
	v_cndmask_b32_e64 v6, 0, 1, s1
	v_sub_nc_u32_e32 v15, v0, v2
	v_add_nc_u32_e32 v2, 12, v5
	v_add_nc_u32_e32 v10, 36, v5
	;; [unrolled: 1-line block ×3, first 2 shown]
	s_or_b32 s0, s0, s4
	v_add_co_u32 v3, s7, s34, v15
	v_add_co_ci_u32_e64 v4, null, s33, 0, s7
	v_add_nc_u32_e32 v13, 60, v5
	v_mul_lo_u32 v7, s16, v5
	v_mul_lo_u32 v8, s16, v2
	v_cmp_gt_u64_e32 vcc_lo, s[20:21], v[3:4]
	s_waitcnt lgkmcnt(0)
	v_mul_lo_u32 v9, s6, v1
	v_mad_u64_u32 v[1:2], null, s18, v15, 0
	v_mul_lo_u32 v10, s16, v10
	v_mul_lo_u32 v11, s16, v11
	v_cndmask_b32_e64 v4, 0, 1, vcc_lo
	s_mov_b32 s10, -2
	v_add_nc_u32_e32 v9, s17, v9
	v_add_lshl_u32 v7, v1, v7, 2
	v_cndmask_b32_e64 v4, v4, v6, s0
	v_add_nc_u32_e32 v6, 24, v5
	v_add_lshl_u32 v8, v1, v8, 2
	v_add_lshl_u32 v10, v1, v10, 2
	;; [unrolled: 1-line block ×3, first 2 shown]
	v_and_b32_e32 v12, 1, v4
	v_lshlrev_b32_e32 v4, 2, v9
	v_add_nc_u32_e32 v9, 0x48, v5
	v_mul_lo_u32 v6, s16, v6
	v_cmp_eq_u32_e64 s0, 1, v12
	v_mul_lo_u32 v12, s16, v13
	v_mul_lo_u32 v9, s16, v9
	v_readfirstlane_b32 s5, v4
	v_cndmask_b32_e64 v7, -1, v7, s0
	v_add_lshl_u32 v6, v1, v6, 2
	v_cndmask_b32_e64 v8, -1, v8, s0
	v_cndmask_b32_e64 v10, -1, v10, s0
	v_add_lshl_u32 v12, v1, v12, 2
	v_add_lshl_u32 v9, v1, v9, 2
	v_cndmask_b32_e64 v13, -1, v6, s0
	v_cndmask_b32_e64 v14, -1, v11, s0
	;; [unrolled: 1-line block ×4, first 2 shown]
	s_clause 0x6
	buffer_load_dword v6, v7, s[8:11], s5 offen
	buffer_load_dword v11, v8, s[8:11], s5 offen
	;; [unrolled: 1-line block ×7, first 2 shown]
	v_mad_u64_u32 v[13:14], null, s19, v15, v[2:3]
	v_lshlrev_b32_e32 v2, 2, v15
	s_and_saveexec_b32 s0, s1
	s_cbranch_execz .LBB0_17
; %bb.16:
	s_waitcnt vmcnt(5)
	v_alignbit_b32 v13, s0, v11, 16
	s_waitcnt vmcnt(3)
	v_bfi_b32 v14, 0xffff, v11, v8
	s_waitcnt vmcnt(1)
	v_bfi_b32 v15, 0xffff, v9, v10
	v_bfi_b32 v16, 0xffff, v8, v7
	s_waitcnt vmcnt(0)
	v_bfi_b32 v17, 0xffff, v12, v9
	v_pk_add_f16 v13, v12, v13 op_sel:[1,0]
	v_pk_add_f16 v18, v10, v7 op_sel_hi:[0,1]
	v_pk_add_f16 v11, v11, v12 op_sel:[1,1] op_sel_hi:[0,0] neg_lo:[0,1] neg_hi:[0,1]
	v_pk_add_f16 v15, v16, v15
	v_pk_add_f16 v14, v14, v17
	v_pk_add_f16 v8, v9, v8 op_sel:[1,1] op_sel_hi:[0,0] neg_lo:[0,1] neg_hi:[0,1]
	v_pk_add_f16 v7, v7, v10 op_sel:[1,1] op_sel_hi:[0,0] neg_lo:[0,1] neg_hi:[0,1]
	v_bfi_b32 v16, 0xffff, v18, v15
	v_pack_b32_f16 v17, v14, v13
	v_pack_b32_f16 v12, v15, v13
	v_bfi_b32 v13, 0xffff, v18, v14
	v_bfi_b32 v18, 0xffff, v15, v14
	v_pk_add_f16 v9, v14, v15 neg_lo:[0,1] neg_hi:[0,1]
	v_pk_add_f16 v19, v16, v17
	v_bfi_b32 v14, 0xffff, v7, v8
	v_pk_add_f16 v10, v12, v13 neg_lo:[0,1] neg_hi:[0,1]
	v_bfi_b32 v13, 0xffff, v8, v11
	v_bfi_b32 v15, 0xffff, v11, v8
	v_pk_add_f16 v12, v18, v19
	v_bfi_b32 v18, 0xffff, v8, v7
	v_pk_mul_f16 v10, 0x3a522b26, v10
	v_pk_add_f16 v13, v13, v14 neg_lo:[0,1] neg_hi:[0,1]
	v_pk_add_f16 v8, v8, v7
	v_pk_add_f16 v6, v12, v6
	v_pk_add_f16 v14, v15, v18 neg_lo:[0,1] neg_hi:[0,1]
	v_pk_fma_f16 v15, 0x2b263a52, v9, v10
	v_pk_mul_f16 v13, 0xb5743846, v13
	v_pk_mul_f16 v9, 0x2b263a52, v9
	v_pk_add_f16 v16, v16, v17 neg_lo:[0,1] neg_hi:[0,1]
	v_pk_mul_f16 v19, 0x3846b574, v14
	v_pk_add_f16 v7, v7, v11 neg_lo:[0,1] neg_hi:[0,1]
	v_pk_fma_f16 v14, 0x3846b574, v14, v13
	v_bfi_b32 v20, 0xffff, v9, v10
	v_bfi_b32 v9, 0xffff, v10, v9
	;; [unrolled: 1-line block ×4, first 2 shown]
	v_pk_fma_f16 v12, 0xbcab, v12, v6 op_sel_hi:[0,1,1]
	v_pk_add_f16 v8, v8, v11
	v_pk_fma_f16 v10, 0x39e0, v16, v20 op_sel_hi:[0,1,1] neg_lo:[0,1,1] neg_hi:[0,1,1]
	v_pk_fma_f16 v11, 0xbb00, v7, v17 op_sel_hi:[0,1,1] neg_lo:[0,1,1] neg_hi:[0,1,1]
	;; [unrolled: 1-line block ×4, first 2 shown]
	v_pk_add_f16 v15, v15, v12
	v_pk_fma_f16 v13, 0xb70e, v8, v14 op_sel_hi:[0,1,1]
	v_pk_add_f16 v10, v10, v12
	v_pk_fma_f16 v11, 0xb70e, v8, v11 op_sel_hi:[0,1,1]
	v_pk_fma_f16 v7, 0xb70e, v8, v7 op_sel_hi:[0,1,1]
	v_pk_add_f16 v8, v9, v12
	v_mul_u32_u24_e32 v18, 0x2a0, v5
	v_pk_add_f16 v9, v15, v13
	v_pk_add_f16 v12, v15, v13 neg_lo:[0,1] neg_hi:[0,1]
	v_pk_add_f16 v13, v10, v11
	v_pk_add_f16 v10, v10, v11 neg_lo:[0,1] neg_hi:[0,1]
	v_pk_add_f16 v11, v8, v7 neg_lo:[0,1] neg_hi:[0,1]
	v_pk_add_f16 v7, v8, v7
	v_add3_u32 v8, 0, v18, v2
	v_bfi_b32 v14, 0xffff, v9, v12
	v_bfi_b32 v15, 0xffff, v13, v10
	;; [unrolled: 1-line block ×6, first 2 shown]
	ds_write2_b32 v8, v6, v14 offset1:24
	ds_write2_b32 v8, v15, v16 offset0:48 offset1:72
	ds_write2_b32 v8, v7, v10 offset0:96 offset1:120
	ds_write_b32 v8, v9 offset:576
.LBB0_17:
	s_or_b32 exec_lo, exec_lo, s0
	s_waitcnt vmcnt(6)
	v_add_nc_u32_e32 v6, 28, v5
	s_waitcnt vmcnt(1)
	v_add_nc_u32_e32 v10, 14, v5
	v_mov_b32_e32 v7, 0
	v_mul_hi_u32 v11, 0x24924925, v5
	s_waitcnt vmcnt(0) lgkmcnt(0)
	v_mul_hi_u32 v13, 0x24924925, v6
	v_mul_hi_u32 v14, 0x24924925, v10
	v_mov_b32_e32 v9, v7
	s_barrier
	buffer_gl0_inv
	v_mul_hi_u32 v19, 0x1861862, v0
	v_mul_u32_u24_e32 v11, 7, v11
	v_mul_hi_u32_u24_e32 v0, 0xc30c31, v0
	v_mul_u32_u24_e32 v8, 7, v13
	v_mul_u32_u24_e32 v12, 7, v14
	s_add_i32 s1, 0, 0x1f80
	v_sub_nc_u32_e32 v15, v5, v11
	s_or_b32 vcc_lo, s4, vcc_lo
	v_sub_nc_u32_e32 v8, v6, v8
	v_sub_nc_u32_e32 v6, v10, v12
	v_lshlrev_b64 v[9:10], 2, v[8:9]
	v_lshlrev_b64 v[11:12], 2, v[6:7]
	v_lshlrev_b32_e32 v7, 2, v15
	v_mad_u32_u24 v6, v14, 14, v6
	v_mad_u32_u24 v8, v13, 14, v8
	v_add_co_u32 v9, s0, s2, v9
	v_add_co_ci_u32_e64 v10, s0, s3, v10, s0
	v_add_co_u32 v11, s0, s2, v11
	v_add_co_ci_u32_e64 v12, s0, s3, v12, s0
	v_mul_i32_i24_e32 v6, 0x60, v6
	s_clause 0x2
	global_load_dword v9, v[9:10], off
	global_load_dword v10, v[11:12], off
	global_load_dword v7, v7, s[2:3]
	v_mul_u32_u24_e32 v11, 0x60, v5
	v_mul_hi_u32 v12, 0x12492493, v5
	v_mul_i32_i24_e32 v8, 0x60, v8
	v_add3_u32 v6, 0, v6, v2
	v_readfirstlane_b32 s0, v4
	v_add3_u32 v11, 0, v11, v2
	ds_read_b32 v16, v11 offset:6720
	ds_read_b32 v17, v11 offset:5376
	;; [unrolled: 1-line block ×3, first 2 shown]
	v_mul_u32_u24_e32 v12, 14, v12
	v_sub_nc_u32_e32 v12, v5, v12
	v_mad_u32_u24 v5, v19, 14, v15
	ds_read_b32 v15, v11
	ds_read_b32 v19, v11 offset:1344
	ds_read_b32 v20, v11 offset:2688
	s_waitcnt vmcnt(0) lgkmcnt(0)
	s_barrier
	v_mul_u32_u24_e32 v21, 5, v12
	v_mul_i32_i24_e32 v5, 0x60, v5
	buffer_gl0_inv
	v_mad_u32_u24 v0, 0x54, v0, v12
	v_lshlrev_b32_e32 v13, 2, v21
	v_add3_u32 v5, 0, v5, v2
	v_add3_u32 v2, 0, v8, v2
	v_mul_lo_u32 v4, s16, v0
	v_add_lshl_u32 v4, v1, v4, 2
	v_cndmask_b32_e32 v4, -1, v4, vcc_lo
	v_pk_mul_f16 v14, v9, v16 op_sel:[0,1]
	v_pk_mul_f16 v22, v10, v17 op_sel:[0,1]
	;; [unrolled: 1-line block ×3, first 2 shown]
	v_pk_fma_f16 v21, v9, v16, v14 op_sel:[0,0,1] op_sel_hi:[1,1,0]
	v_pk_fma_f16 v24, v10, v17, v22 op_sel:[0,0,1] op_sel_hi:[1,1,0]
	;; [unrolled: 1-line block ×3, first 2 shown]
	v_pk_fma_f16 v7, v7, v18, v23 op_sel:[0,0,1] op_sel_hi:[1,0,0] neg_lo:[1,0,0] neg_hi:[1,0,0]
	v_pk_fma_f16 v10, v10, v17, v22 op_sel:[0,0,1] op_sel_hi:[1,0,0] neg_lo:[1,0,0] neg_hi:[1,0,0]
	;; [unrolled: 1-line block ×3, first 2 shown]
	v_bfi_b32 v7, 0xffff, v25, v7
	v_bfi_b32 v10, 0xffff, v24, v10
	;; [unrolled: 1-line block ×3, first 2 shown]
	v_pk_add_f16 v7, v15, v7 neg_lo:[0,1] neg_hi:[0,1]
	v_pk_add_f16 v10, v19, v10 neg_lo:[0,1] neg_hi:[0,1]
	;; [unrolled: 1-line block ×3, first 2 shown]
	v_pk_fma_f16 v8, v15, 2.0, v7 op_sel_hi:[1,0,1] neg_lo:[0,0,1] neg_hi:[0,0,1]
	v_pk_fma_f16 v14, v19, 2.0, v10 op_sel_hi:[1,0,1] neg_lo:[0,0,1] neg_hi:[0,0,1]
	;; [unrolled: 1-line block ×3, first 2 shown]
	ds_write2_b32 v5, v8, v7 offset1:168
	ds_write2_b32 v6, v14, v10 offset1:168
	ds_write2_b32 v2, v15, v9 offset1:168
	s_waitcnt lgkmcnt(0)
	s_barrier
	buffer_gl0_inv
	s_clause 0x1
	global_load_dwordx4 v[5:8], v13, s[2:3] offset:28
	global_load_dword v2, v13, s[2:3] offset:44
	v_mul_lo_u32 v9, v3, 14
	v_mul_lo_u32 v3, v12, v3
	v_add_nc_u32_e32 v10, 14, v0
	v_add_nc_u32_e32 v12, 28, v0
	;; [unrolled: 1-line block ×5, first 2 shown]
	v_mul_lo_u32 v10, s16, v10
	v_mul_lo_u32 v12, s16, v12
	v_and_b32_e32 v15, 31, v3
	v_lshrrev_b32_e32 v16, 3, v3
	v_lshrrev_b32_e32 v17, 8, v3
	v_add_nc_u32_e32 v3, v3, v9
	v_mul_lo_u32 v13, s16, v13
	v_mul_lo_u32 v14, s16, v14
	;; [unrolled: 1-line block ×3, first 2 shown]
	v_add_lshl_u32 v10, v1, v10, 2
	v_and_b32_e32 v18, 31, v3
	v_lshrrev_b32_e32 v19, 3, v3
	v_lshrrev_b32_e32 v20, 8, v3
	v_add_nc_u32_e32 v3, v3, v9
	v_add_lshl_u32 v12, v1, v12, 2
	v_add_lshl_u32 v13, v1, v13, 2
	v_and_b32_e32 v19, 0x7c, v19
	v_and_b32_e32 v20, 0x7c, v20
	;; [unrolled: 1-line block ×3, first 2 shown]
	v_lshrrev_b32_e32 v22, 3, v3
	v_lshrrev_b32_e32 v23, 8, v3
	v_add_nc_u32_e32 v3, v3, v9
	v_add_lshl_u32 v14, v1, v14, 2
	v_add_lshl_u32 v0, v1, v0, 2
	v_add_nc_u32_e32 v1, s1, v19
	v_add_nc_u32_e32 v19, s1, v20
	v_lshl_add_u32 v20, v21, 2, 0
	v_and_b32_e32 v21, 0x7c, v22
	v_and_b32_e32 v22, 0x7c, v23
	;; [unrolled: 1-line block ×3, first 2 shown]
	v_lshrrev_b32_e32 v24, 3, v3
	v_lshrrev_b32_e32 v25, 8, v3
	v_add_nc_u32_e32 v3, v3, v9
	v_and_b32_e32 v16, 0x7c, v16
	v_and_b32_e32 v17, 0x7c, v17
	;; [unrolled: 1-line block ×4, first 2 shown]
	v_add_nc_u32_e32 v9, v3, v9
	v_and_b32_e32 v26, 31, v3
	v_lshrrev_b32_e32 v27, 3, v3
	v_lshrrev_b32_e32 v3, 8, v3
	v_lshl_add_u32 v15, v15, 2, 0
	v_lshrrev_b32_e32 v28, 3, v9
	v_lshrrev_b32_e32 v29, 8, v9
	v_and_b32_e32 v27, 0x7c, v27
	v_and_b32_e32 v3, 0x7c, v3
	;; [unrolled: 1-line block ×4, first 2 shown]
	v_add_nc_u32_e32 v16, s1, v16
	v_add_nc_u32_e32 v17, s1, v17
	v_lshl_add_u32 v18, v18, 2, 0
	v_add_nc_u32_e32 v21, s1, v21
	v_add_nc_u32_e32 v22, s1, v22
	v_lshl_add_u32 v23, v23, 2, 0
	;; [unrolled: 3-line block ×4, first 2 shown]
	v_add_nc_u32_e32 v28, s1, v28
	v_and_b32_e32 v29, 0x7c, v29
	ds_read_b32 v30, v11
	ds_read_b32 v31, v11 offset:1344
	ds_read_b32 v32, v11 offset:2688
	;; [unrolled: 1-line block ×22, first 2 shown]
	s_waitcnt lgkmcnt(21)
	v_lshrrev_b32_e32 v36, 16, v31
	s_waitcnt lgkmcnt(20)
	v_lshrrev_b32_e32 v37, 16, v32
	;; [unrolled: 2-line block ×3, first 2 shown]
	v_add_nc_u32_e32 v29, s1, v29
	s_waitcnt lgkmcnt(16)
	v_lshrrev_b32_e32 v41, 16, v15
	s_waitcnt lgkmcnt(15)
	v_mul_f16_sdwa v42, v15, v16 dst_sel:DWORD dst_unused:UNUSED_PAD src0_sel:DWORD src1_sel:WORD_1
	s_waitcnt lgkmcnt(13)
	v_lshrrev_b32_e32 v43, 16, v18
	s_waitcnt lgkmcnt(12)
	v_mul_f16_sdwa v44, v18, v1 dst_sel:DWORD dst_unused:UNUSED_PAD src0_sel:DWORD src1_sel:WORD_1
	ds_read_b32 v29, v29 offset:256
	s_waitcnt lgkmcnt(11)
	v_lshrrev_b32_e32 v45, 16, v20
	s_waitcnt lgkmcnt(10)
	v_mul_f16_sdwa v46, v20, v21 dst_sel:DWORD dst_unused:UNUSED_PAD src0_sel:DWORD src1_sel:WORD_1
	v_mul_f16_sdwa v53, v41, v16 dst_sel:DWORD dst_unused:UNUSED_PAD src0_sel:DWORD src1_sel:WORD_1
	s_waitcnt lgkmcnt(8)
	v_lshrrev_b32_e32 v47, 16, v23
	s_waitcnt lgkmcnt(7)
	v_mul_f16_sdwa v48, v23, v24 dst_sel:DWORD dst_unused:UNUSED_PAD src0_sel:DWORD src1_sel:WORD_1
	v_fmac_f16_e32 v42, v41, v16
	s_waitcnt lgkmcnt(5)
	v_lshrrev_b32_e32 v49, 16, v26
	s_waitcnt lgkmcnt(4)
	v_mul_f16_sdwa v50, v26, v27 dst_sel:DWORD dst_unused:UNUSED_PAD src0_sel:DWORD src1_sel:WORD_1
	v_mul_f16_sdwa v41, v43, v1 dst_sel:DWORD dst_unused:UNUSED_PAD src0_sel:DWORD src1_sel:WORD_1
	s_waitcnt lgkmcnt(2)
	v_lshrrev_b32_e32 v51, 16, v9
	s_waitcnt lgkmcnt(1)
	v_mul_f16_sdwa v52, v9, v28 dst_sel:DWORD dst_unused:UNUSED_PAD src0_sel:DWORD src1_sel:WORD_1
	v_fmac_f16_e32 v44, v43, v1
	v_mul_f16_sdwa v43, v45, v21 dst_sel:DWORD dst_unused:UNUSED_PAD src0_sel:DWORD src1_sel:WORD_1
	v_fmac_f16_e32 v46, v45, v21
	v_mul_f16_sdwa v45, v47, v24 dst_sel:DWORD dst_unused:UNUSED_PAD src0_sel:DWORD src1_sel:WORD_1
	v_fmac_f16_e32 v48, v47, v24
	v_mul_f16_sdwa v47, v49, v27 dst_sel:DWORD dst_unused:UNUSED_PAD src0_sel:DWORD src1_sel:WORD_1
	v_fmac_f16_e32 v50, v49, v27
	v_mul_f16_sdwa v49, v51, v28 dst_sel:DWORD dst_unused:UNUSED_PAD src0_sel:DWORD src1_sel:WORD_1
	v_fmac_f16_e32 v52, v51, v28
	v_fma_f16 v15, v15, v16, -v53
	v_mul_f16_sdwa v16, v42, v17 dst_sel:DWORD dst_unused:UNUSED_PAD src0_sel:DWORD src1_sel:WORD_1
	v_fma_f16 v1, v18, v1, -v41
	v_mul_f16_sdwa v18, v44, v19 dst_sel:DWORD dst_unused:UNUSED_PAD src0_sel:DWORD src1_sel:WORD_1
	;; [unrolled: 2-line block ×4, first 2 shown]
	v_fma_f16 v9, v9, v28, -v49
	s_waitcnt lgkmcnt(0)
	v_mul_f16_sdwa v28, v52, v29 dst_sel:DWORD dst_unused:UNUSED_PAD src0_sel:DWORD src1_sel:WORD_1
	v_lshrrev_b32_e32 v39, 16, v34
	v_lshrrev_b32_e32 v40, 16, v11
	v_fma_f16 v20, v20, v21, -v43
	v_mul_f16_sdwa v21, v46, v22 dst_sel:DWORD dst_unused:UNUSED_PAD src0_sel:DWORD src1_sel:WORD_1
	v_fma_f16 v16, v17, v15, -v16
	v_mul_f16_sdwa v15, v15, v17 dst_sel:DWORD dst_unused:UNUSED_PAD src0_sel:DWORD src1_sel:WORD_1
	;; [unrolled: 2-line block ×7, first 2 shown]
	v_fmac_f16_e32 v15, v17, v42
	v_fmac_f16_e32 v1, v19, v44
	;; [unrolled: 1-line block ×6, first 2 shown]
	v_lshrrev_b32_e32 v35, 16, v30
	v_cndmask_b32_e32 v10, -1, v10, vcc_lo
	v_cndmask_b32_e32 v12, -1, v12, vcc_lo
	;; [unrolled: 1-line block ×5, first 2 shown]
	s_waitcnt vmcnt(1)
	v_mul_f16_sdwa v3, v5, v36 dst_sel:DWORD dst_unused:UNUSED_PAD src0_sel:WORD_1 src1_sel:DWORD
	v_mul_f16_sdwa v17, v5, v31 dst_sel:DWORD dst_unused:UNUSED_PAD src0_sel:WORD_1 src1_sel:DWORD
	;; [unrolled: 1-line block ×6, first 2 shown]
	s_waitcnt vmcnt(0)
	v_mul_f16_sdwa v43, v2, v40 dst_sel:DWORD dst_unused:UNUSED_PAD src0_sel:WORD_1 src1_sel:DWORD
	v_mul_f16_sdwa v44, v2, v11 dst_sel:DWORD dst_unused:UNUSED_PAD src0_sel:WORD_1 src1_sel:DWORD
	;; [unrolled: 1-line block ×4, first 2 shown]
	v_fmac_f16_e32 v3, v5, v31
	v_fma_f16 v5, v5, v36, -v17
	v_fmac_f16_e32 v19, v6, v32
	v_fmac_f16_e32 v25, v7, v33
	v_fma_f16 v7, v7, v38, -v29
	v_fmac_f16_e32 v41, v8, v34
	v_fmac_f16_e32 v43, v2, v11
	v_fma_f16 v2, v2, v40, -v44
	v_fma_f16 v6, v6, v37, -v22
	;; [unrolled: 1-line block ×3, first 2 shown]
	v_add_f16_e32 v17, v19, v41
	v_add_f16_e32 v34, v5, v7
	v_sub_f16_e32 v33, v7, v2
	v_add_f16_e32 v7, v7, v2
	v_add_f16_e32 v11, v30, v19
	v_sub_f16_e32 v22, v6, v8
	v_add_f16_e32 v29, v35, v6
	v_add_f16_e32 v6, v6, v8
	;; [unrolled: 1-line block ×4, first 2 shown]
	v_sub_f16_e32 v25, v25, v43
	v_fmac_f16_e32 v30, -0.5, v17
	v_fmac_f16_e32 v5, -0.5, v7
	v_sub_f16_e32 v19, v19, v41
	v_add_f16_e32 v11, v11, v41
	v_add_f16_e32 v8, v29, v8
	v_fmac_f16_e32 v35, -0.5, v6
	v_add_f16_e32 v6, v31, v43
	v_fmac_f16_e32 v3, -0.5, v32
	v_add_f16_e32 v2, v34, v2
	v_fmamk_f16 v7, v22, 0xbaee, v30
	v_fmac_f16_e32 v30, 0x3aee, v22
	v_fmamk_f16 v22, v25, 0x3aee, v5
	v_fmac_f16_e32 v5, 0xbaee, v25
	;; [unrolled: 2-line block ×3, first 2 shown]
	v_fmamk_f16 v19, v33, 0xbaee, v3
	v_add_f16_e32 v25, v11, v6
	v_add_f16_e32 v29, v8, v2
	v_sub_f16_e32 v2, v8, v2
	v_mul_f16_e32 v8, 0xbaee, v22
	v_mul_f16_e32 v22, 0.5, v22
	v_fmac_f16_e32 v3, 0x3aee, v33
	v_sub_f16_e32 v6, v11, v6
	v_mul_f16_e32 v11, 0xbaee, v5
	v_mul_f16_e32 v5, -0.5, v5
	v_mul_f16_e32 v31, v29, v15
	v_mul_f16_e32 v15, v25, v15
	;; [unrolled: 1-line block ×3, first 2 shown]
	v_fmac_f16_e32 v8, 0.5, v19
	v_fmac_f16_e32 v22, 0x3aee, v19
	v_fmac_f16_e32 v11, -0.5, v3
	v_fmac_f16_e32 v5, 0x3aee, v3
	v_mul_f16_e32 v23, v6, v23
	v_fmac_f16_e32 v31, v25, v16
	v_fma_f16 v3, v29, v16, -v15
	v_fmac_f16_e32 v32, v6, v24
	v_add_f16_e32 v6, v7, v8
	v_add_f16_e32 v16, v17, v22
	;; [unrolled: 1-line block ×4, first 2 shown]
	v_sub_f16_e32 v7, v7, v8
	v_sub_f16_e32 v8, v30, v11
	;; [unrolled: 1-line block ×4, first 2 shown]
	v_mul_f16_e32 v17, v16, v1
	v_mul_f16_e32 v1, v6, v1
	;; [unrolled: 1-line block ×4, first 2 shown]
	v_fma_f16 v2, v2, v24, -v23
	v_mul_f16_e32 v23, v11, v26
	v_mul_f16_e32 v24, v7, v26
	;; [unrolled: 1-line block ×4, first 2 shown]
	v_fma_f16 v1, v16, v18, -v1
	v_fmac_f16_e32 v17, v6, v18
	v_fma_f16 v6, v19, v21, -v20
	v_lshlrev_b32_e32 v3, 16, v3
	v_fmac_f16_e32 v23, v7, v27
	v_fma_f16 v7, v11, v27, -v24
	v_fma_f16 v5, v5, v28, -v9
	v_lshlrev_b32_e32 v1, 16, v1
	v_fmac_f16_e32 v22, v15, v21
	v_lshlrev_b32_e32 v6, 16, v6
	v_lshlrev_b32_e32 v2, 16, v2
	v_or_b32_sdwa v3, v3, v31 dst_sel:DWORD dst_unused:UNUSED_PAD src0_sel:DWORD src1_sel:WORD_0
	v_lshlrev_b32_e32 v7, 16, v7
	v_fmac_f16_e32 v25, v8, v28
	v_lshlrev_b32_e32 v5, 16, v5
	v_or_b32_sdwa v1, v1, v17 dst_sel:DWORD dst_unused:UNUSED_PAD src0_sel:DWORD src1_sel:WORD_0
	v_or_b32_sdwa v6, v6, v22 dst_sel:DWORD dst_unused:UNUSED_PAD src0_sel:DWORD src1_sel:WORD_0
	;; [unrolled: 1-line block ×3, first 2 shown]
	buffer_store_dword v3, v4, s[8:11], s0 offen
	v_or_b32_sdwa v3, v7, v23 dst_sel:DWORD dst_unused:UNUSED_PAD src0_sel:DWORD src1_sel:WORD_0
	v_or_b32_sdwa v4, v5, v25 dst_sel:DWORD dst_unused:UNUSED_PAD src0_sel:DWORD src1_sel:WORD_0
	buffer_store_dword v1, v10, s[8:11], s0 offen
	buffer_store_dword v6, v12, s[8:11], s0 offen
	;; [unrolled: 1-line block ×5, first 2 shown]
	s_endpgm
	.section	.rodata,"a",@progbits
	.p2align	6, 0x0
	.amdhsa_kernel fft_rtc_back_len84_factors_7_2_6_wgs_336_tpt_14_half_ip_CI_sbcc_twdbase5_3step_dirReg_intrinsicReadWrite
		.amdhsa_group_segment_fixed_size 0
		.amdhsa_private_segment_fixed_size 0
		.amdhsa_kernarg_size 96
		.amdhsa_user_sgpr_count 6
		.amdhsa_user_sgpr_private_segment_buffer 1
		.amdhsa_user_sgpr_dispatch_ptr 0
		.amdhsa_user_sgpr_queue_ptr 0
		.amdhsa_user_sgpr_kernarg_segment_ptr 1
		.amdhsa_user_sgpr_dispatch_id 0
		.amdhsa_user_sgpr_flat_scratch_init 0
		.amdhsa_user_sgpr_private_segment_size 0
		.amdhsa_wavefront_size32 1
		.amdhsa_uses_dynamic_stack 0
		.amdhsa_system_sgpr_private_segment_wavefront_offset 0
		.amdhsa_system_sgpr_workgroup_id_x 1
		.amdhsa_system_sgpr_workgroup_id_y 0
		.amdhsa_system_sgpr_workgroup_id_z 0
		.amdhsa_system_sgpr_workgroup_info 0
		.amdhsa_system_vgpr_workitem_id 0
		.amdhsa_next_free_vgpr 54
		.amdhsa_next_free_sgpr 43
		.amdhsa_reserve_vcc 1
		.amdhsa_reserve_flat_scratch 0
		.amdhsa_float_round_mode_32 0
		.amdhsa_float_round_mode_16_64 0
		.amdhsa_float_denorm_mode_32 3
		.amdhsa_float_denorm_mode_16_64 3
		.amdhsa_dx10_clamp 1
		.amdhsa_ieee_mode 1
		.amdhsa_fp16_overflow 0
		.amdhsa_workgroup_processor_mode 1
		.amdhsa_memory_ordered 1
		.amdhsa_forward_progress 0
		.amdhsa_shared_vgpr_count 0
		.amdhsa_exception_fp_ieee_invalid_op 0
		.amdhsa_exception_fp_denorm_src 0
		.amdhsa_exception_fp_ieee_div_zero 0
		.amdhsa_exception_fp_ieee_overflow 0
		.amdhsa_exception_fp_ieee_underflow 0
		.amdhsa_exception_fp_ieee_inexact 0
		.amdhsa_exception_int_div_zero 0
	.end_amdhsa_kernel
	.text
.Lfunc_end0:
	.size	fft_rtc_back_len84_factors_7_2_6_wgs_336_tpt_14_half_ip_CI_sbcc_twdbase5_3step_dirReg_intrinsicReadWrite, .Lfunc_end0-fft_rtc_back_len84_factors_7_2_6_wgs_336_tpt_14_half_ip_CI_sbcc_twdbase5_3step_dirReg_intrinsicReadWrite
                                        ; -- End function
	.section	.AMDGPU.csdata,"",@progbits
; Kernel info:
; codeLenInByte = 5084
; NumSgprs: 45
; NumVgprs: 54
; ScratchSize: 0
; MemoryBound: 0
; FloatMode: 240
; IeeeMode: 1
; LDSByteSize: 0 bytes/workgroup (compile time only)
; SGPRBlocks: 5
; VGPRBlocks: 6
; NumSGPRsForWavesPerEU: 45
; NumVGPRsForWavesPerEU: 54
; Occupancy: 14
; WaveLimiterHint : 0
; COMPUTE_PGM_RSRC2:SCRATCH_EN: 0
; COMPUTE_PGM_RSRC2:USER_SGPR: 6
; COMPUTE_PGM_RSRC2:TRAP_HANDLER: 0
; COMPUTE_PGM_RSRC2:TGID_X_EN: 1
; COMPUTE_PGM_RSRC2:TGID_Y_EN: 0
; COMPUTE_PGM_RSRC2:TGID_Z_EN: 0
; COMPUTE_PGM_RSRC2:TIDIG_COMP_CNT: 0
	.text
	.p2alignl 6, 3214868480
	.fill 48, 4, 3214868480
	.type	__hip_cuid_cd869a427b1554b4,@object ; @__hip_cuid_cd869a427b1554b4
	.section	.bss,"aw",@nobits
	.globl	__hip_cuid_cd869a427b1554b4
__hip_cuid_cd869a427b1554b4:
	.byte	0                               ; 0x0
	.size	__hip_cuid_cd869a427b1554b4, 1

	.ident	"AMD clang version 19.0.0git (https://github.com/RadeonOpenCompute/llvm-project roc-6.4.0 25133 c7fe45cf4b819c5991fe208aaa96edf142730f1d)"
	.section	".note.GNU-stack","",@progbits
	.addrsig
	.addrsig_sym __hip_cuid_cd869a427b1554b4
	.amdgpu_metadata
---
amdhsa.kernels:
  - .args:
      - .actual_access:  read_only
        .address_space:  global
        .offset:         0
        .size:           8
        .value_kind:     global_buffer
      - .address_space:  global
        .offset:         8
        .size:           8
        .value_kind:     global_buffer
      - .offset:         16
        .size:           8
        .value_kind:     by_value
      - .actual_access:  read_only
        .address_space:  global
        .offset:         24
        .size:           8
        .value_kind:     global_buffer
      - .actual_access:  read_only
        .address_space:  global
        .offset:         32
        .size:           8
        .value_kind:     global_buffer
      - .offset:         40
        .size:           8
        .value_kind:     by_value
      - .actual_access:  read_only
        .address_space:  global
        .offset:         48
        .size:           8
        .value_kind:     global_buffer
      - .actual_access:  read_only
        .address_space:  global
        .offset:         56
        .size:           8
        .value_kind:     global_buffer
      - .offset:         64
        .size:           4
        .value_kind:     by_value
      - .actual_access:  read_only
        .address_space:  global
        .offset:         72
        .size:           8
        .value_kind:     global_buffer
      - .actual_access:  read_only
        .address_space:  global
        .offset:         80
        .size:           8
        .value_kind:     global_buffer
      - .address_space:  global
        .offset:         88
        .size:           8
        .value_kind:     global_buffer
    .group_segment_fixed_size: 0
    .kernarg_segment_align: 8
    .kernarg_segment_size: 96
    .language:       OpenCL C
    .language_version:
      - 2
      - 0
    .max_flat_workgroup_size: 336
    .name:           fft_rtc_back_len84_factors_7_2_6_wgs_336_tpt_14_half_ip_CI_sbcc_twdbase5_3step_dirReg_intrinsicReadWrite
    .private_segment_fixed_size: 0
    .sgpr_count:     45
    .sgpr_spill_count: 0
    .symbol:         fft_rtc_back_len84_factors_7_2_6_wgs_336_tpt_14_half_ip_CI_sbcc_twdbase5_3step_dirReg_intrinsicReadWrite.kd
    .uniform_work_group_size: 1
    .uses_dynamic_stack: false
    .vgpr_count:     54
    .vgpr_spill_count: 0
    .wavefront_size: 32
    .workgroup_processor_mode: 1
amdhsa.target:   amdgcn-amd-amdhsa--gfx1030
amdhsa.version:
  - 1
  - 2
...

	.end_amdgpu_metadata
